;; amdgpu-corpus repo=ROCm/rocFFT kind=compiled arch=gfx906 opt=O3
	.text
	.amdgcn_target "amdgcn-amd-amdhsa--gfx906"
	.amdhsa_code_object_version 6
	.protected	transpose_c2r_even_pre_tile32x16_dp_CI_CI_grid1D ; -- Begin function transpose_c2r_even_pre_tile32x16_dp_CI_CI_grid1D
	.globl	transpose_c2r_even_pre_tile32x16_dp_CI_CI_grid1D
	.p2align	8
	.type	transpose_c2r_even_pre_tile32x16_dp_CI_CI_grid1D,@function
transpose_c2r_even_pre_tile32x16_dp_CI_CI_grid1D: ; @transpose_c2r_even_pre_tile32x16_dp_CI_CI_grid1D
; %bb.0:
	s_load_dwordx2 s[12:13], s[4:5], 0x70
	s_load_dwordx2 s[2:3], s[4:5], 0x0
	;; [unrolled: 1-line block ×3, first 2 shown]
	s_waitcnt lgkmcnt(0)
	s_mul_i32 s8, s13, s12
	v_cvt_f32_u32_e32 v2, s8
	s_sub_i32 s7, 0, s8
	v_cvt_f32_u32_e32 v3, s13
	v_rcp_iflag_f32_e32 v2, v2
	v_rcp_iflag_f32_e32 v3, v3
	v_mul_f32_e32 v2, 0x4f7ffffe, v2
	v_cvt_u32_f32_e32 v2, v2
	v_mul_f32_e32 v3, 0x4f7ffffe, v3
	v_cvt_u32_f32_e32 v3, v3
	v_readfirstlane_b32 s9, v2
	s_mul_i32 s7, s7, s9
	s_mul_hi_u32 s7, s9, s7
	s_add_i32 s9, s9, s7
	s_mul_hi_u32 s7, s6, s9
	s_mul_i32 s9, s7, s8
	s_sub_i32 s9, s6, s9
	s_add_i32 s10, s7, 1
	s_sub_i32 s11, s9, s8
	s_cmp_ge_u32 s9, s8
	s_cselect_b32 s7, s10, s7
	s_cselect_b32 s9, s11, s9
	s_add_i32 s10, s7, 1
	s_cmp_ge_u32 s9, s8
	s_cselect_b32 s7, s10, s7
	s_sub_i32 s9, 0, s13
	s_cmp_lg_u64 s[2:3], 2
	s_cselect_b64 s[14:15], -1, 0
	s_cmp_eq_u64 s[2:3], 2
	s_load_dwordx2 s[10:11], s[0:1], 0x0
	s_cselect_b64 s[2:3], -1, 0
	s_and_b64 vcc, s[2:3], exec
	v_readfirstlane_b32 s20, v3
	s_cselect_b32 s2, 8, 16
	s_mul_i32 s9, s9, s20
	s_add_u32 s2, s0, s2
	s_mul_i32 s12, s7, s8
	s_mul_hi_u32 s18, s20, s9
	s_addc_u32 s3, s1, 0
	s_waitcnt lgkmcnt(0)
	s_mov_b64 s[8:9], s[10:11]
	s_cbranch_vccnz .LBB0_2
; %bb.1:
	s_load_dwordx2 s[0:1], s[0:1], 0x8
	s_waitcnt lgkmcnt(0)
	s_mul_i32 s8, s0, s11
	s_mul_hi_u32 s9, s0, s10
	s_mul_i32 s1, s1, s10
	s_add_i32 s8, s9, s8
	s_add_i32 s9, s8, s1
	s_mul_i32 s8, s0, s10
.LBB0_2:
	s_lshl_b32 s7, s7, 5
	s_load_dwordx2 s[16:17], s[4:5], 0x38
	v_add_co_u32_e32 v3, vcc, s7, v0
	v_addc_co_u32_e64 v4, s[0:1], 0, 0, vcc
	v_or_b32_e32 v6, s11, v4
	v_mov_b32_e32 v5, 0
	v_cmp_ne_u64_e32 vcc, 0, v[5:6]
	s_sub_i32 s12, s6, s12
	s_add_i32 s20, s20, s18
                                        ; implicit-def: $vgpr6_vgpr7
	s_and_saveexec_b64 s[0:1], vcc
	s_xor_b64 s[18:19], exec, s[0:1]
	s_cbranch_execz .LBB0_4
; %bb.3:
	v_cvt_f32_u32_e32 v2, s10
	v_cvt_f32_u32_e32 v5, s11
	s_sub_u32 s0, 0, s10
	s_subb_u32 s1, 0, s11
	v_madmk_f32 v2, v5, 0x4f800000, v2
	v_rcp_f32_e32 v2, v2
	v_mul_f32_e32 v2, 0x5f7ffffc, v2
	v_mul_f32_e32 v5, 0x2f800000, v2
	v_trunc_f32_e32 v5, v5
	v_madmk_f32 v2, v5, 0xcf800000, v2
	v_cvt_u32_f32_e32 v5, v5
	v_cvt_u32_f32_e32 v2, v2
	v_mul_lo_u32 v6, s0, v5
	v_mul_hi_u32 v7, s0, v2
	v_mul_lo_u32 v9, s1, v2
	v_mul_lo_u32 v8, s0, v2
	v_add_u32_e32 v6, v7, v6
	v_add_u32_e32 v6, v6, v9
	v_mul_hi_u32 v7, v2, v8
	v_mul_lo_u32 v9, v2, v6
	v_mul_hi_u32 v11, v2, v6
	v_mul_hi_u32 v10, v5, v8
	v_mul_lo_u32 v8, v5, v8
	v_mul_hi_u32 v12, v5, v6
	v_add_co_u32_e32 v7, vcc, v7, v9
	v_addc_co_u32_e32 v9, vcc, 0, v11, vcc
	v_mul_lo_u32 v6, v5, v6
	v_add_co_u32_e32 v7, vcc, v7, v8
	v_addc_co_u32_e32 v7, vcc, v9, v10, vcc
	v_addc_co_u32_e32 v8, vcc, 0, v12, vcc
	v_add_co_u32_e32 v6, vcc, v7, v6
	v_addc_co_u32_e32 v7, vcc, 0, v8, vcc
	v_add_co_u32_e32 v2, vcc, v2, v6
	v_addc_co_u32_e32 v5, vcc, v5, v7, vcc
	v_mul_lo_u32 v6, s0, v5
	v_mul_hi_u32 v7, s0, v2
	v_mul_lo_u32 v8, s1, v2
	v_mul_lo_u32 v9, s0, v2
	v_add_u32_e32 v6, v7, v6
	v_add_u32_e32 v6, v6, v8
	v_mul_lo_u32 v10, v2, v6
	v_mul_hi_u32 v11, v2, v9
	v_mul_hi_u32 v12, v2, v6
	;; [unrolled: 1-line block ×3, first 2 shown]
	v_mul_lo_u32 v9, v5, v9
	v_mul_hi_u32 v7, v5, v6
	v_add_co_u32_e32 v10, vcc, v11, v10
	v_addc_co_u32_e32 v11, vcc, 0, v12, vcc
	v_mul_lo_u32 v6, v5, v6
	v_add_co_u32_e32 v9, vcc, v10, v9
	v_addc_co_u32_e32 v8, vcc, v11, v8, vcc
	v_addc_co_u32_e32 v7, vcc, 0, v7, vcc
	v_add_co_u32_e32 v6, vcc, v8, v6
	v_addc_co_u32_e32 v7, vcc, 0, v7, vcc
	v_add_co_u32_e32 v2, vcc, v2, v6
	v_addc_co_u32_e32 v7, vcc, v5, v7, vcc
	v_mad_u64_u32 v[5:6], s[0:1], v3, v7, 0
	v_mul_hi_u32 v8, v3, v2
	v_mul_lo_u32 v2, v4, v2
	v_add_co_u32_e32 v8, vcc, v8, v5
	v_addc_co_u32_e32 v9, vcc, 0, v6, vcc
	v_mad_u64_u32 v[5:6], s[0:1], v4, v7, 0
	v_add_co_u32_e32 v2, vcc, v8, v2
	v_addc_co_u32_e32 v2, vcc, 0, v9, vcc
	v_addc_co_u32_e32 v6, vcc, 0, v6, vcc
	v_add_co_u32_e32 v2, vcc, v2, v5
	v_addc_co_u32_e32 v7, vcc, 0, v6, vcc
	v_mul_lo_u32 v8, s11, v2
	v_mul_lo_u32 v9, s10, v7
	v_mad_u64_u32 v[5:6], s[0:1], s10, v2, 0
	v_add3_u32 v6, v6, v9, v8
	v_sub_u32_e32 v8, v4, v6
	v_mov_b32_e32 v9, s11
	v_sub_co_u32_e32 v5, vcc, v3, v5
	v_subb_co_u32_e64 v8, s[0:1], v8, v9, vcc
	v_subrev_co_u32_e64 v9, s[0:1], s10, v5
	v_subbrev_co_u32_e64 v8, s[0:1], 0, v8, s[0:1]
	v_cmp_le_u32_e64 s[0:1], s11, v8
	v_cndmask_b32_e64 v10, 0, -1, s[0:1]
	v_cmp_le_u32_e64 s[0:1], s10, v9
	v_cndmask_b32_e64 v9, 0, -1, s[0:1]
	v_cmp_eq_u32_e64 s[0:1], s11, v8
	v_cndmask_b32_e64 v8, v10, v9, s[0:1]
	v_add_co_u32_e64 v9, s[0:1], 2, v2
	v_addc_co_u32_e64 v10, s[0:1], 0, v7, s[0:1]
	v_add_co_u32_e64 v11, s[0:1], 1, v2
	v_addc_co_u32_e64 v12, s[0:1], 0, v7, s[0:1]
	v_subb_co_u32_e32 v6, vcc, v4, v6, vcc
	v_cmp_ne_u32_e64 s[0:1], 0, v8
	v_cmp_le_u32_e32 vcc, s11, v6
	v_cndmask_b32_e64 v8, v12, v10, s[0:1]
	v_cndmask_b32_e64 v10, 0, -1, vcc
	v_cmp_le_u32_e32 vcc, s10, v5
	v_cndmask_b32_e64 v5, 0, -1, vcc
	v_cmp_eq_u32_e32 vcc, s11, v6
	v_cndmask_b32_e32 v5, v10, v5, vcc
	v_cmp_ne_u32_e32 vcc, 0, v5
	v_cndmask_b32_e64 v5, v11, v9, s[0:1]
	v_cndmask_b32_e32 v7, v7, v8, vcc
	v_cndmask_b32_e32 v6, v2, v5, vcc
.LBB0_4:
	s_or_saveexec_b64 s[0:1], s[18:19]
	s_load_dwordx2 s[24:25], s[4:5], 0x40
	s_load_dwordx2 s[26:27], s[2:3], 0x0
	s_mul_hi_u32 s23, s12, s20
	s_mul_hi_u32 s22, s6, s20
	s_xor_b64 exec, exec, s[0:1]
	s_cbranch_execz .LBB0_6
; %bb.5:
	v_cvt_f32_u32_e32 v2, s10
	s_sub_i32 s2, 0, s10
	v_rcp_iflag_f32_e32 v2, v2
	v_mul_f32_e32 v2, 0x4f7ffffe, v2
	v_cvt_u32_f32_e32 v2, v2
	v_mul_lo_u32 v5, s2, v2
	v_mul_hi_u32 v5, v2, v5
	v_add_u32_e32 v2, v2, v5
	v_mul_hi_u32 v2, v3, v2
	v_mul_lo_u32 v5, v2, s10
	v_add_u32_e32 v6, 1, v2
	v_sub_u32_e32 v5, v3, v5
	v_subrev_u32_e32 v7, s10, v5
	v_cmp_le_u32_e32 vcc, s10, v5
	v_cndmask_b32_e32 v5, v5, v7, vcc
	v_cndmask_b32_e32 v2, v2, v6, vcc
	v_add_u32_e32 v6, 1, v2
	v_cmp_le_u32_e32 vcc, s10, v5
	v_cndmask_b32_e32 v6, v2, v6, vcc
	v_mov_b32_e32 v7, 0
.LBB0_6:
	s_or_b64 exec, exec, s[0:1]
	s_waitcnt lgkmcnt(0)
	s_load_dwordx4 s[0:3], s[16:17], 0x0
	s_load_dwordx2 s[20:21], s[4:5], 0x8
	s_andn2_b64 vcc, exec, s[14:15]
	s_waitcnt lgkmcnt(0)
	s_mov_b64 s[18:19], s[2:3]
	s_cbranch_vccnz .LBB0_8
; %bb.7:
	s_load_dwordx2 s[18:19], s[16:17], 0x10
.LBB0_8:
	v_mul_lo_u32 v2, v7, s10
	v_mul_lo_u32 v5, v6, s11
	v_mad_u64_u32 v[8:9], s[10:11], v6, s10, 0
	v_mov_b32_e32 v11, s9
	v_mov_b32_e32 v10, s8
	v_add3_u32 v2, v9, v5, v2
	v_sub_co_u32_e32 v15, vcc, v3, v8
	v_subb_co_u32_e32 v16, vcc, v4, v2, vcc
	v_mul_lo_u32 v2, s1, v15
	v_mul_lo_u32 v5, s0, v16
	v_mad_u64_u32 v[8:9], s[0:1], s0, v15, 0
	s_mul_i32 s22, s22, s13
	v_lshlrev_b32_e32 v14, 4, v1
	v_add3_u32 v9, v9, v5, v2
	v_mad_u64_u32 v[8:9], s[0:1], s2, v6, v[8:9]
	s_mul_i32 s0, s23, s13
	s_sub_i32 s0, s12, s0
	v_mul_lo_u32 v2, s2, v7
	s_add_i32 s1, s23, 1
	s_sub_i32 s2, s0, s13
	s_cmp_ge_u32 s0, s13
	s_cselect_b32 s1, s1, s23
	s_cselect_b32 s0, s2, s0
	s_add_i32 s2, s1, 1
	s_cmp_ge_u32 s0, s13
	s_cselect_b32 s10, s2, s1
	s_add_u32 s0, s26, -2
	s_addc_u32 s1, s27, -1
	v_mul_lo_u32 v5, s3, v6
	v_cmp_lt_u64_e64 s[2:3], s[0:1], 32
	s_lshr_b64 s[0:1], s[0:1], 1
	s_and_b64 s[2:3], s[2:3], exec
	s_cselect_b32 s11, s1, 0
	s_cselect_b32 s16, s0, 16
	s_mul_i32 s0, s11, s10
	s_mul_hi_u32 s1, s16, s10
	s_add_i32 s36, s1, s0
	s_mul_i32 s35, s16, s10
	s_add_u32 s30, s35, 1
	s_addc_u32 s33, s36, 0
	s_lshr_b64 s[14:15], s[26:27], 1
	s_add_u32 s0, s7, 32
	s_addc_u32 s1, 0, 0
	v_cmp_lt_u64_e32 vcc, s[0:1], v[10:11]
	v_mov_b32_e32 v10, s14
	s_and_b64 s[2:3], vcc, exec
	s_cselect_b32 s1, s1, s9
	s_cselect_b32 s0, s0, s8
	s_add_u32 s2, s30, s16
	s_addc_u32 s3, s33, s11
	v_mov_b32_e32 v11, s15
	v_cmp_lt_u64_e32 vcc, s[2:3], v[10:11]
	s_sub_u32 s7, s14, s30
	s_subb_u32 s8, s15, s33
	s_and_b64 s[2:3], vcc, exec
	s_cselect_b32 s3, s11, s8
	s_cselect_b32 s2, s16, s7
	s_sub_i32 s6, s6, s22
	s_sub_i32 s7, s6, s13
	s_load_dwordx2 s[8:9], s[4:5], 0x10
	s_cmp_ge_u32 s6, s13
	s_cselect_b32 s6, s7, s6
	s_sub_i32 s7, s6, s13
	s_cmp_ge_u32 s6, s13
	s_cselect_b32 s37, s7, s6
	s_waitcnt lgkmcnt(0)
	s_mul_i32 s6, s37, s9
	s_mul_hi_u32 s7, s37, s8
	s_mul_i32 s28, s37, s8
	s_load_dwordx4 s[8:11], s[24:25], 0x0
	s_load_dwordx2 s[22:23], s[24:25], 0x10
	v_add3_u32 v9, v5, v9, v2
	v_mov_b32_e32 v2, 0
	s_add_i32 s29, s7, s6
	v_cmp_gt_u64_e64 s[0:1], s[0:1], v[3:4]
	v_cmp_gt_u64_e32 vcc, s[2:3], v[1:2]
	s_add_u32 s31, s26, -1
	s_addc_u32 s34, s27, -1
	s_and_b64 s[16:17], s[0:1], vcc
	s_and_saveexec_b64 s[2:3], s[16:17]
	s_cbranch_execz .LBB0_10
; %bb.9:
	v_mov_b32_e32 v2, s33
	v_add_co_u32_e32 v10, vcc, s30, v1
	v_addc_co_u32_e32 v11, vcc, 0, v2, vcc
	v_mul_lo_u32 v4, s19, v10
	v_mul_lo_u32 v5, s18, v11
	v_mad_u64_u32 v[2:3], s[6:7], s18, v10, 0
	s_lshl_b64 s[6:7], s[28:29], 4
	s_add_u32 s6, s6, s20
	v_add3_u32 v3, v3, v5, v4
	v_lshlrev_b64 v[4:5], 4, v[8:9]
	s_addc_u32 s7, s7, s21
	v_mov_b32_e32 v12, s7
	v_add_co_u32_e32 v13, vcc, s6, v4
	v_addc_co_u32_e32 v12, vcc, v12, v5, vcc
	v_mov_b32_e32 v4, s34
	v_sub_co_u32_e32 v5, vcc, s31, v10
	v_subb_co_u32_e32 v4, vcc, v4, v11, vcc
	v_mul_lo_u32 v10, s19, v5
	v_mul_lo_u32 v11, s18, v4
	v_mad_u64_u32 v[4:5], s[6:7], s18, v5, 0
	v_lshlrev_b64 v[2:3], 4, v[2:3]
	v_add_co_u32_e32 v17, vcc, v13, v2
	v_add3_u32 v5, v5, v11, v10
	v_addc_co_u32_e32 v18, vcc, v12, v3, vcc
	v_lshlrev_b64 v[2:3], 4, v[4:5]
	v_add_co_u32_e32 v19, vcc, v13, v2
	v_addc_co_u32_e32 v20, vcc, v12, v3, vcc
	global_load_dwordx4 v[2:5], v[17:18], off
	global_load_dwordx4 v[10:13], v[19:20], off
	v_lshl_add_u32 v17, v0, 8, v14
	s_waitcnt vmcnt(1)
	ds_write_b128 v17, v[2:5]
	s_waitcnt vmcnt(0)
	ds_write_b128 v17, v[10:13] offset:8192
.LBB0_10:
	s_or_b64 exec, exec, s[2:3]
	s_load_dwordx2 s[6:7], s[4:5], 0x18
	s_mov_b32 s26, 0
	s_mov_b32 s27, 0x7ff80000
	v_mov_b32_e32 v2, s26
	s_cmp_lt_u32 s12, s13
	v_mov_b32_e32 v3, s27
	s_cselect_b64 s[12:13], -1, 0
	v_cmp_eq_u32_e64 s[2:3], 0, v1
	v_mov_b32_e32 v5, v3
	s_and_b64 s[38:39], s[2:3], s[12:13]
	v_mov_b32_e32 v4, v2
                                        ; implicit-def: $vgpr12_vgpr13
                                        ; implicit-def: $vgpr10_vgpr11
	s_and_saveexec_b64 s[24:25], s[38:39]
	s_cbranch_execz .LBB0_16
; %bb.11:
	v_mov_b32_e32 v4, s26
	v_mov_b32_e32 v5, s27
	;; [unrolled: 1-line block ×4, first 2 shown]
                                        ; implicit-def: $vgpr10_vgpr11
                                        ; implicit-def: $vgpr12_vgpr13
	s_and_saveexec_b64 s[26:27], s[0:1]
	s_cbranch_execz .LBB0_15
; %bb.12:
	s_lshl_b64 s[28:29], s[28:29], 4
	v_lshlrev_b64 v[2:3], 4, v[8:9]
	s_add_u32 s20, s28, s20
	s_addc_u32 s21, s29, s21
	v_mov_b32_e32 v4, s21
	v_add_co_u32_e32 v8, vcc, s20, v2
	v_addc_co_u32_e32 v9, vcc, v4, v3, vcc
	global_load_dwordx2 v[10:11], v[8:9], off
	s_mov_b32 s20, 0
	s_mov_b32 s21, 0x7ff80000
	v_mov_b32_e32 v2, s20
	s_bitcmp1_b32 s31, 0
	v_mov_b32_e32 v3, s21
	s_cselect_b64 s[28:29], -1, 0
	v_mov_b32_e32 v5, v3
	s_and_b64 vcc, exec, s[28:29]
	v_mov_b32_e32 v4, v2
	s_cbranch_vccnz .LBB0_14
; %bb.13:
	s_mul_i32 s20, s18, s15
	s_mul_hi_u32 s21, s18, s14
	s_add_i32 s20, s21, s20
	s_mul_i32 s21, s19, s14
	s_add_i32 s21, s20, s21
	s_mul_i32 s20, s18, s14
	s_lshl_b64 s[20:21], s[20:21], 4
	v_mov_b32_e32 v3, s21
	v_add_co_u32_e32 v2, vcc, s20, v8
	v_addc_co_u32_e32 v3, vcc, v9, v3, vcc
	global_load_dwordx4 v[2:5], v[2:3], off
	s_waitcnt vmcnt(0)
	v_add_f64 v[2:3], v[2:3], v[2:3]
	v_mul_f64 v[4:5], v[4:5], -2.0
.LBB0_14:
	s_mul_i32 s20, s18, s34
	s_mul_hi_u32 s21, s18, s31
	s_add_i32 s20, s21, s20
	s_mul_i32 s19, s19, s31
	s_add_i32 s19, s20, s19
	s_mul_i32 s18, s18, s31
	s_lshl_b64 s[18:19], s[18:19], 4
	v_mov_b32_e32 v12, s19
	v_add_co_u32_e32 v8, vcc, s18, v8
	v_addc_co_u32_e32 v9, vcc, v9, v12, vcc
	global_load_dwordx2 v[12:13], v[8:9], off
.LBB0_15:
	s_or_b64 exec, exec, s[26:27]
.LBB0_16:
	s_or_b64 exec, exec, s[24:25]
	s_waitcnt lgkmcnt(0)
	v_mul_lo_u32 v17, s11, v15
	v_mul_lo_u32 v16, s10, v16
	v_mad_u64_u32 v[8:9], s[10:11], s10, v15, 0
	v_mul_lo_u32 v7, s22, v7
	s_and_b64 s[0:1], s[2:3], s[0:1]
	v_add3_u32 v9, v9, v16, v17
	v_mad_u64_u32 v[8:9], s[10:11], s22, v6, v[8:9]
	v_mul_lo_u32 v6, s23, v6
	s_load_dwordx2 s[10:11], s[4:5], 0x20
	s_and_b64 s[2:3], s[12:13], s[0:1]
	s_waitcnt lgkmcnt(0)
	v_add3_u32 v9, v6, v9, v7
	v_lshlrev_b64 v[6:7], 4, v[8:9]
	s_mul_i32 s11, s37, s11
	s_mul_hi_u32 s18, s37, s10
	s_add_i32 s11, s18, s11
	s_mul_i32 s10, s37, s10
	s_waitcnt vmcnt(0)
	s_barrier
	s_and_saveexec_b64 s[0:1], s[2:3]
	s_cbranch_execz .LBB0_19
; %bb.17:
	v_add_f64 v[15:16], v[12:13], v[10:11]
	v_add_f64 v[17:18], v[10:11], -v[12:13]
	s_lshl_b64 s[2:3], s[10:11], 4
	s_add_u32 s2, s2, s6
	s_addc_u32 s3, s3, s7
	v_mov_b32_e32 v9, s3
	v_add_co_u32_e32 v8, vcc, s2, v6
	s_bitcmp1_b32 s31, 0
	v_addc_co_u32_e32 v9, vcc, v9, v7, vcc
	s_cselect_b64 s[2:3], -1, 0
	s_and_b64 vcc, exec, s[2:3]
	global_store_dwordx4 v[8:9], v[15:18], off
	s_cbranch_vccnz .LBB0_19
; %bb.18:
	s_mul_i32 s2, s8, s15
	s_mul_hi_u32 s3, s8, s14
	s_add_i32 s2, s3, s2
	s_mul_i32 s3, s9, s14
	s_add_i32 s3, s2, s3
	s_mul_i32 s2, s8, s14
	s_lshl_b64 s[2:3], s[2:3], 4
	v_mov_b32_e32 v10, s3
	v_add_co_u32_e32 v8, vcc, s2, v8
	v_addc_co_u32_e32 v9, vcc, v9, v10, vcc
	global_store_dwordx4 v[8:9], v[2:5], off
.LBB0_19:
	s_or_b64 exec, exec, s[0:1]
	s_and_saveexec_b64 s[0:1], s[16:17]
	s_cbranch_execz .LBB0_21
; %bb.20:
	s_load_dwordx2 s[0:1], s[4:5], 0x28
	v_mov_b32_e32 v3, s36
	v_add_co_u32_e32 v2, vcc, s35, v1
	v_addc_co_u32_e32 v3, vcc, 0, v3, vcc
	v_lshlrev_b64 v[2:3], 4, v[2:3]
	s_waitcnt lgkmcnt(0)
	v_mov_b32_e32 v4, s1
	v_add_co_u32_e32 v2, vcc, s0, v2
	v_addc_co_u32_e32 v3, vcc, v4, v3, vcc
	global_load_dwordx4 v[2:5], v[2:3], off offset:16
	v_lshl_add_u32 v0, v0, 8, v14
	ds_read_b128 v[8:11], v0
	ds_read_b128 v[12:15], v0 offset:8192
	v_mov_b32_e32 v16, s33
	v_add_co_u32_e32 v18, vcc, s30, v1
	s_lshl_b64 s[0:1], s[10:11], 4
	v_addc_co_u32_e32 v16, vcc, 0, v16, vcc
	v_mad_u64_u32 v[0:1], s[2:3], s8, v18, 0
	v_mov_b32_e32 v17, s34
	v_mul_lo_u32 v22, s9, v18
	s_add_u32 s2, s0, s6
	v_sub_co_u32_e32 v18, vcc, s31, v18
	v_mul_lo_u32 v23, s8, v16
	s_addc_u32 s3, s1, s7
	v_subb_co_u32_e32 v24, vcc, v17, v16, vcc
	v_mul_lo_u32 v25, s9, v18
	v_mad_u64_u32 v[16:17], s[0:1], s8, v18, 0
	s_waitcnt lgkmcnt(0)
	v_add_f64 v[18:19], v[8:9], v[12:13]
	v_add_f64 v[20:21], v[10:11], v[14:15]
	v_add_f64 v[8:9], v[8:9], -v[12:13]
	v_add_f64 v[10:11], v[10:11], -v[14:15]
	v_mov_b32_e32 v12, s3
	v_add_co_u32_e32 v26, vcc, s2, v6
	v_addc_co_u32_e32 v27, vcc, v12, v7, vcc
	v_mul_lo_u32 v24, s8, v24
	v_add3_u32 v1, v1, v23, v22
	v_add3_u32 v17, v17, v24, v25
	v_lshlrev_b64 v[16:17], 4, v[16:17]
	s_waitcnt vmcnt(0)
	v_fma_f64 v[6:7], v[8:9], v[4:5], v[18:19]
	v_fma_f64 v[12:13], v[20:21], v[4:5], v[10:11]
	v_fma_f64 v[14:15], -v[8:9], v[4:5], v[18:19]
	v_fma_f64 v[10:11], v[20:21], v[4:5], -v[10:11]
	v_lshlrev_b64 v[18:19], 4, v[0:1]
	v_fma_f64 v[4:5], -v[20:21], v[2:3], v[6:7]
	v_fma_f64 v[6:7], v[8:9], v[2:3], v[12:13]
	v_fma_f64 v[0:1], v[20:21], v[2:3], v[14:15]
	;; [unrolled: 1-line block ×3, first 2 shown]
	v_add_co_u32_e32 v8, vcc, v26, v18
	v_addc_co_u32_e32 v9, vcc, v27, v19, vcc
	v_add_co_u32_e32 v10, vcc, v26, v16
	v_addc_co_u32_e32 v11, vcc, v27, v17, vcc
	global_store_dwordx4 v[8:9], v[4:7], off
	global_store_dwordx4 v[10:11], v[0:3], off
.LBB0_21:
	s_endpgm
	.section	.rodata,"a",@progbits
	.p2align	6, 0x0
	.amdhsa_kernel transpose_c2r_even_pre_tile32x16_dp_CI_CI_grid1D
		.amdhsa_group_segment_fixed_size 16384
		.amdhsa_private_segment_fixed_size 0
		.amdhsa_kernarg_size 120
		.amdhsa_user_sgpr_count 6
		.amdhsa_user_sgpr_private_segment_buffer 1
		.amdhsa_user_sgpr_dispatch_ptr 0
		.amdhsa_user_sgpr_queue_ptr 0
		.amdhsa_user_sgpr_kernarg_segment_ptr 1
		.amdhsa_user_sgpr_dispatch_id 0
		.amdhsa_user_sgpr_flat_scratch_init 0
		.amdhsa_user_sgpr_private_segment_size 0
		.amdhsa_uses_dynamic_stack 0
		.amdhsa_system_sgpr_private_segment_wavefront_offset 0
		.amdhsa_system_sgpr_workgroup_id_x 1
		.amdhsa_system_sgpr_workgroup_id_y 0
		.amdhsa_system_sgpr_workgroup_id_z 0
		.amdhsa_system_sgpr_workgroup_info 0
		.amdhsa_system_vgpr_workitem_id 1
		.amdhsa_next_free_vgpr 28
		.amdhsa_next_free_sgpr 40
		.amdhsa_reserve_vcc 1
		.amdhsa_reserve_flat_scratch 0
		.amdhsa_float_round_mode_32 0
		.amdhsa_float_round_mode_16_64 0
		.amdhsa_float_denorm_mode_32 3
		.amdhsa_float_denorm_mode_16_64 3
		.amdhsa_dx10_clamp 1
		.amdhsa_ieee_mode 1
		.amdhsa_fp16_overflow 0
		.amdhsa_exception_fp_ieee_invalid_op 0
		.amdhsa_exception_fp_denorm_src 0
		.amdhsa_exception_fp_ieee_div_zero 0
		.amdhsa_exception_fp_ieee_overflow 0
		.amdhsa_exception_fp_ieee_underflow 0
		.amdhsa_exception_fp_ieee_inexact 0
		.amdhsa_exception_int_div_zero 0
	.end_amdhsa_kernel
	.text
.Lfunc_end0:
	.size	transpose_c2r_even_pre_tile32x16_dp_CI_CI_grid1D, .Lfunc_end0-transpose_c2r_even_pre_tile32x16_dp_CI_CI_grid1D
                                        ; -- End function
	.section	.AMDGPU.csdata,"",@progbits
; Kernel info:
; codeLenInByte = 2588
; NumSgprs: 44
; NumVgprs: 28
; ScratchSize: 0
; MemoryBound: 1
; FloatMode: 240
; IeeeMode: 1
; LDSByteSize: 16384 bytes/workgroup (compile time only)
; SGPRBlocks: 5
; VGPRBlocks: 6
; NumSGPRsForWavesPerEU: 44
; NumVGPRsForWavesPerEU: 28
; Occupancy: 8
; WaveLimiterHint : 1
; COMPUTE_PGM_RSRC2:SCRATCH_EN: 0
; COMPUTE_PGM_RSRC2:USER_SGPR: 6
; COMPUTE_PGM_RSRC2:TRAP_HANDLER: 0
; COMPUTE_PGM_RSRC2:TGID_X_EN: 1
; COMPUTE_PGM_RSRC2:TGID_Y_EN: 0
; COMPUTE_PGM_RSRC2:TGID_Z_EN: 0
; COMPUTE_PGM_RSRC2:TIDIG_COMP_CNT: 1
	.type	__hip_cuid_7b434210de80dd1,@object ; @__hip_cuid_7b434210de80dd1
	.section	.bss,"aw",@nobits
	.globl	__hip_cuid_7b434210de80dd1
__hip_cuid_7b434210de80dd1:
	.byte	0                               ; 0x0
	.size	__hip_cuid_7b434210de80dd1, 1

	.ident	"AMD clang version 19.0.0git (https://github.com/RadeonOpenCompute/llvm-project roc-6.4.0 25133 c7fe45cf4b819c5991fe208aaa96edf142730f1d)"
	.section	".note.GNU-stack","",@progbits
	.addrsig
	.addrsig_sym __hip_cuid_7b434210de80dd1
	.amdgpu_metadata
---
amdhsa.kernels:
  - .args:
      - .offset:         0
        .size:           8
        .value_kind:     by_value
      - .actual_access:  read_only
        .address_space:  global
        .offset:         8
        .size:           8
        .value_kind:     global_buffer
      - .offset:         16
        .size:           8
        .value_kind:     by_value
      - .actual_access:  write_only
        .address_space:  global
        .offset:         24
        .size:           8
        .value_kind:     global_buffer
      - .offset:         32
        .size:           8
        .value_kind:     by_value
      - .actual_access:  read_only
        .address_space:  global
        .offset:         40
        .size:           8
        .value_kind:     global_buffer
      - .actual_access:  read_only
        .address_space:  global
        .offset:         48
        .size:           8
        .value_kind:     global_buffer
      - .actual_access:  read_only
        .address_space:  global
        .offset:         56
        .size:           8
        .value_kind:     global_buffer
      - .actual_access:  read_only
        .address_space:  global
        .offset:         64
        .size:           8
        .value_kind:     global_buffer
      - .actual_access:  read_only
        .address_space:  global
        .offset:         72
        .size:           8
        .value_kind:     global_buffer
      - .actual_access:  read_only
        .address_space:  global
        .offset:         80
        .size:           8
        .value_kind:     global_buffer
      - .offset:         88
        .size:           4
        .value_kind:     by_value
      - .actual_access:  read_only
        .address_space:  global
        .offset:         96
        .size:           8
        .value_kind:     global_buffer
      - .actual_access:  read_only
        .address_space:  global
        .offset:         104
        .size:           8
        .value_kind:     global_buffer
      - .offset:         112
        .size:           4
        .value_kind:     by_value
      - .offset:         116
        .size:           4
        .value_kind:     by_value
    .group_segment_fixed_size: 16384
    .kernarg_segment_align: 8
    .kernarg_segment_size: 120
    .language:       OpenCL C
    .language_version:
      - 2
      - 0
    .max_flat_workgroup_size: 512
    .name:           transpose_c2r_even_pre_tile32x16_dp_CI_CI_grid1D
    .private_segment_fixed_size: 0
    .sgpr_count:     44
    .sgpr_spill_count: 0
    .symbol:         transpose_c2r_even_pre_tile32x16_dp_CI_CI_grid1D.kd
    .uniform_work_group_size: 1
    .uses_dynamic_stack: false
    .vgpr_count:     28
    .vgpr_spill_count: 0
    .wavefront_size: 64
amdhsa.target:   amdgcn-amd-amdhsa--gfx906
amdhsa.version:
  - 1
  - 2
...

	.end_amdgpu_metadata
